;; amdgpu-corpus repo=ROCm/rocFFT kind=compiled arch=gfx906 opt=O3
	.text
	.amdgcn_target "amdgcn-amd-amdhsa--gfx906"
	.amdhsa_code_object_version 6
	.protected	bluestein_single_back_len64_dim1_sp_op_CI_CI ; -- Begin function bluestein_single_back_len64_dim1_sp_op_CI_CI
	.globl	bluestein_single_back_len64_dim1_sp_op_CI_CI
	.p2align	8
	.type	bluestein_single_back_len64_dim1_sp_op_CI_CI,@function
bluestein_single_back_len64_dim1_sp_op_CI_CI: ; @bluestein_single_back_len64_dim1_sp_op_CI_CI
; %bb.0:
	s_load_dwordx4 s[12:15], s[4:5], 0x28
	v_lshrrev_b32_e32 v11, 4, v0
	v_lshl_or_b32 v9, s6, 2, v11
	v_mov_b32_e32 v10, 0
	s_waitcnt lgkmcnt(0)
	v_cmp_gt_u64_e32 vcc, s[12:13], v[9:10]
	s_and_saveexec_b64 s[0:1], vcc
	s_cbranch_execz .LBB0_2
; %bb.1:
	s_load_dwordx4 s[0:3], s[4:5], 0x18
	s_load_dwordx4 s[8:11], s[4:5], 0x0
	v_and_b32_e32 v10, 15, v0
	v_mov_b32_e32 v8, s15
	v_lshlrev_b32_e32 v33, 3, v10
	s_waitcnt lgkmcnt(0)
	s_load_dwordx4 s[16:19], s[0:1], 0x0
	s_add_u32 s6, s8, 0x200
	s_addc_u32 s7, s9, 0
	v_lshlrev_b32_e32 v22, 6, v11
	v_lshlrev_b32_e32 v24, 2, v10
	s_waitcnt lgkmcnt(0)
	v_mad_u64_u32 v[1:2], s[0:1], s18, v9, 0
	v_mad_u64_u32 v[3:4], s[0:1], s16, v10, 0
	v_or_b32_e32 v11, v22, v24
	v_lshlrev_b32_e32 v35, 3, v11
	v_mad_u64_u32 v[5:6], s[0:1], s19, v9, v[2:3]
	v_and_b32_e32 v23, 3, v0
	v_or_b32_e32 v0, v22, v10
	v_mad_u64_u32 v[6:7], s[0:1], s17, v10, v[4:5]
	v_mov_b32_e32 v2, v5
	v_lshlrev_b64 v[1:2], 3, v[1:2]
	v_mov_b32_e32 v4, v6
	v_add_co_u32_e32 v5, vcc, s14, v1
	v_addc_co_u32_e32 v6, vcc, v8, v2, vcc
	v_lshlrev_b64 v[1:2], 3, v[3:4]
	s_lshl_b64 s[0:1], s[16:17], 7
	v_add_co_u32_e32 v1, vcc, v5, v1
	v_addc_co_u32_e32 v2, vcc, v6, v2, vcc
	v_mov_b32_e32 v19, s1
	v_add_co_u32_e32 v5, vcc, s0, v1
	v_addc_co_u32_e32 v6, vcc, v2, v19, vcc
	global_load_dwordx2 v[12:13], v[1:2], off
	v_add_co_u32_e32 v7, vcc, s0, v5
	global_load_dwordx2 v[14:15], v[5:6], off
	global_load_dwordx2 v[3:4], v33, s[8:9]
	global_load_dwordx2 v[1:2], v33, s[8:9] offset:128
	v_addc_co_u32_e32 v8, vcc, v6, v19, vcc
	v_add_co_u32_e32 v18, vcc, s0, v7
	global_load_dwordx2 v[16:17], v[7:8], off
	global_load_dwordx2 v[5:6], v33, s[8:9] offset:256
	v_addc_co_u32_e32 v19, vcc, v8, v19, vcc
	global_load_dwordx2 v[7:8], v33, s[8:9] offset:384
	global_load_dwordx2 v[20:21], v[18:19], off
	v_lshlrev_b32_e32 v0, 3, v0
	s_load_dwordx4 s[0:3], s[2:3], 0x0
	v_and_b32_e32 v24, 48, v24
	v_or3_b32 v22, v24, v22, v23
	v_lshlrev_b32_e32 v36, 3, v22
	s_waitcnt vmcnt(5)
	v_mul_f32_e32 v11, v12, v4
	v_mul_f32_e32 v18, v13, v4
	v_fma_f32 v19, v13, v3, -v11
	v_fmac_f32_e32 v18, v12, v3
	s_waitcnt vmcnt(4)
	v_mul_f32_e32 v12, v14, v2
	v_mul_f32_e32 v11, v15, v2
	v_fma_f32 v12, v15, v1, -v12
	v_fmac_f32_e32 v11, v14, v1
	s_waitcnt vmcnt(2)
	v_mul_f32_e32 v13, v17, v6
	v_mul_f32_e32 v14, v16, v6
	ds_write2_b64 v0, v[18:19], v[11:12] offset1:16
	s_waitcnt vmcnt(0)
	v_mul_f32_e32 v11, v21, v8
	v_mul_f32_e32 v12, v20, v8
	v_fmac_f32_e32 v13, v16, v5
	v_fma_f32 v14, v17, v5, -v14
	v_fmac_f32_e32 v11, v20, v7
	v_fma_f32 v12, v21, v7, -v12
	ds_write2_b64 v0, v[13:14], v[11:12] offset0:32 offset1:48
	s_waitcnt lgkmcnt(0)
	; wave barrier
	s_waitcnt lgkmcnt(0)
	ds_read2_b64 v[11:14], v0 offset1:16
	ds_read2_b64 v[15:18], v0 offset0:32 offset1:48
	v_mad_u64_u32 v[19:20], s[12:13], v23, 24, s[10:11]
	s_waitcnt lgkmcnt(0)
	; wave barrier
	s_waitcnt lgkmcnt(0)
	v_sub_f32_e32 v15, v11, v15
	v_sub_f32_e32 v16, v12, v16
	;; [unrolled: 1-line block ×4, first 2 shown]
	v_fma_f32 v21, v11, 2.0, -v15
	v_fma_f32 v25, v12, 2.0, -v16
	;; [unrolled: 1-line block ×4, first 2 shown]
	v_sub_f32_e32 v13, v15, v18
	v_add_f32_e32 v14, v16, v17
	v_sub_f32_e32 v11, v21, v11
	v_sub_f32_e32 v12, v25, v12
	v_fma_f32 v17, v15, 2.0, -v13
	v_fma_f32 v18, v16, 2.0, -v14
	;; [unrolled: 1-line block ×4, first 2 shown]
	ds_write_b128 v35, v[11:14] offset:16
	ds_write_b128 v35, v[15:18]
	s_waitcnt lgkmcnt(0)
	; wave barrier
	s_waitcnt lgkmcnt(0)
	global_load_dwordx4 v[11:14], v[19:20], off
	global_load_dwordx2 v[27:28], v[19:20], off offset:16
	ds_read2_b64 v[15:18], v0 offset0:32 offset1:48
	s_waitcnt vmcnt(1) lgkmcnt(0)
	v_mul_f32_e32 v19, v16, v14
	v_mul_f32_e32 v20, v15, v14
	s_waitcnt vmcnt(0)
	v_mul_f32_e32 v21, v18, v28
	v_mul_f32_e32 v25, v17, v28
	v_fma_f32 v19, v15, v13, -v19
	v_fmac_f32_e32 v20, v16, v13
	v_fma_f32 v21, v17, v27, -v21
	v_fmac_f32_e32 v25, v18, v27
	ds_read2_b64 v[15:18], v0 offset1:16
	s_waitcnt lgkmcnt(0)
	; wave barrier
	s_waitcnt lgkmcnt(0)
	v_mul_f32_e32 v22, v18, v12
	v_mul_f32_e32 v23, v17, v12
	v_fma_f32 v17, v17, v11, -v22
	v_fmac_f32_e32 v23, v18, v11
	v_sub_f32_e32 v22, v15, v19
	v_sub_f32_e32 v24, v16, v20
	v_fma_f32 v26, v15, 2.0, -v22
	v_fma_f32 v29, v16, 2.0, -v24
	v_mad_u64_u32 v[19:20], s[10:11], v10, 24, s[10:11]
	v_sub_f32_e32 v16, v17, v21
	v_sub_f32_e32 v15, v23, v25
	v_fma_f32 v17, v17, 2.0, -v16
	v_fma_f32 v18, v23, 2.0, -v15
	v_sub_f32_e32 v15, v22, v15
	v_add_f32_e32 v16, v24, v16
	v_sub_f32_e32 v17, v26, v17
	v_sub_f32_e32 v18, v29, v18
	v_fma_f32 v21, v22, 2.0, -v15
	v_fma_f32 v22, v24, 2.0, -v16
	ds_write2_b64 v36, v[17:18], v[15:16] offset0:8 offset1:12
	v_fma_f32 v15, v26, 2.0, -v17
	v_fma_f32 v16, v29, 2.0, -v18
	ds_write2_b64 v36, v[15:16], v[21:22] offset1:4
	s_waitcnt lgkmcnt(0)
	; wave barrier
	s_waitcnt lgkmcnt(0)
	global_load_dwordx4 v[15:18], v[19:20], off offset:96
	global_load_dwordx2 v[29:30], v[19:20], off offset:112
	ds_read2_b64 v[19:22], v0 offset0:32 offset1:48
	s_waitcnt vmcnt(1) lgkmcnt(0)
	v_mul_f32_e32 v23, v20, v18
	v_fma_f32 v23, v19, v17, -v23
	v_mul_f32_e32 v24, v19, v18
	s_waitcnt vmcnt(0)
	v_mul_f32_e32 v19, v22, v30
	v_mul_f32_e32 v26, v21, v30
	v_fmac_f32_e32 v24, v20, v17
	v_fma_f32 v25, v21, v29, -v19
	v_fmac_f32_e32 v26, v22, v29
	ds_read2_b64 v[19:22], v0 offset1:16
	s_waitcnt lgkmcnt(0)
	v_mul_f32_e32 v31, v22, v16
	v_fma_f32 v31, v21, v15, -v31
	v_mul_f32_e32 v21, v21, v16
	v_fmac_f32_e32 v21, v22, v15
	v_sub_f32_e32 v23, v19, v23
	v_sub_f32_e32 v24, v20, v24
	v_fma_f32 v32, v19, 2.0, -v23
	v_fma_f32 v34, v20, 2.0, -v24
	v_sub_f32_e32 v20, v31, v25
	v_sub_f32_e32 v19, v21, v26
	v_fma_f32 v22, v31, 2.0, -v20
	v_fma_f32 v25, v21, 2.0, -v19
	v_sub_f32_e32 v19, v23, v19
	v_add_f32_e32 v20, v24, v20
	v_sub_f32_e32 v21, v32, v22
	v_sub_f32_e32 v22, v34, v25
	v_fma_f32 v23, v23, 2.0, -v19
	v_fma_f32 v24, v24, 2.0, -v20
	;; [unrolled: 1-line block ×4, first 2 shown]
	ds_write2_b64 v0, v[25:26], v[23:24] offset1:16
	ds_write2_b64 v0, v[21:22], v[19:20] offset0:32 offset1:48
	s_waitcnt lgkmcnt(0)
	; wave barrier
	s_waitcnt lgkmcnt(0)
	global_load_dwordx2 v[23:24], v33, s[8:9] offset:512
	global_load_dwordx2 v[25:26], v33, s[6:7] offset:384
	ds_read2_b64 v[19:22], v0 offset1:16
	s_waitcnt vmcnt(1) lgkmcnt(0)
	v_mul_f32_e32 v31, v20, v24
	v_mul_f32_e32 v32, v19, v24
	v_fma_f32 v31, v19, v23, -v31
	v_fmac_f32_e32 v32, v20, v23
	global_load_dwordx2 v[19:20], v33, s[6:7] offset:128
	global_load_dwordx2 v[23:24], v33, s[6:7] offset:256
	s_waitcnt vmcnt(1)
	v_mul_f32_e32 v33, v22, v20
	v_mul_f32_e32 v34, v21, v20
	v_fma_f32 v33, v21, v19, -v33
	v_fmac_f32_e32 v34, v22, v19
	ds_write2_b64 v0, v[31:32], v[33:34] offset1:16
	ds_read2_b64 v[19:22], v0 offset0:32 offset1:48
	s_waitcnt vmcnt(0) lgkmcnt(0)
	v_mul_f32_e32 v31, v20, v24
	v_mul_f32_e32 v32, v19, v24
	v_fma_f32 v31, v19, v23, -v31
	v_fmac_f32_e32 v32, v20, v23
	v_mul_f32_e32 v19, v22, v26
	v_mul_f32_e32 v20, v21, v26
	v_fma_f32 v19, v21, v25, -v19
	v_fmac_f32_e32 v20, v22, v25
	ds_write2_b64 v0, v[31:32], v[19:20] offset0:32 offset1:48
	s_waitcnt lgkmcnt(0)
	; wave barrier
	s_waitcnt lgkmcnt(0)
	ds_read2_b64 v[19:22], v0 offset1:16
	ds_read2_b64 v[23:26], v0 offset0:32 offset1:48
	s_waitcnt lgkmcnt(0)
	; wave barrier
	s_waitcnt lgkmcnt(0)
	v_sub_f32_e32 v23, v19, v23
	v_sub_f32_e32 v24, v20, v24
	;; [unrolled: 1-line block ×4, first 2 shown]
	v_fma_f32 v31, v19, 2.0, -v23
	v_fma_f32 v32, v20, 2.0, -v24
	;; [unrolled: 1-line block ×4, first 2 shown]
	v_add_f32_e32 v21, v23, v26
	v_sub_f32_e32 v22, v24, v25
	v_sub_f32_e32 v19, v31, v19
	;; [unrolled: 1-line block ×3, first 2 shown]
	v_fma_f32 v25, v23, 2.0, -v21
	v_fma_f32 v26, v24, 2.0, -v22
	;; [unrolled: 1-line block ×4, first 2 shown]
	ds_write_b128 v35, v[19:22] offset:16
	ds_write_b128 v35, v[23:26]
	s_waitcnt lgkmcnt(0)
	; wave barrier
	s_waitcnt lgkmcnt(0)
	ds_read2_b64 v[19:22], v0 offset0:32 offset1:48
	s_waitcnt lgkmcnt(0)
	v_mul_f32_e32 v31, v28, v22
	v_mul_f32_e32 v23, v28, v21
	;; [unrolled: 1-line block ×4, first 2 shown]
	v_fmac_f32_e32 v31, v27, v21
	v_fma_f32 v27, v27, v22, -v23
	v_fmac_f32_e32 v28, v13, v19
	v_fma_f32 v32, v13, v20, -v14
	ds_read2_b64 v[19:22], v0 offset1:16
	s_waitcnt lgkmcnt(0)
	; wave barrier
	s_waitcnt lgkmcnt(0)
	v_mul_f32_e32 v33, v12, v22
	v_mul_f32_e32 v12, v12, v21
	v_fmac_f32_e32 v33, v11, v21
	v_fma_f32 v21, v11, v22, -v12
	v_mad_u64_u32 v[11:12], s[6:7], s2, v9, 0
	v_mad_u64_u32 v[12:13], s[2:3], s3, v9, v[12:13]
	;; [unrolled: 1-line block ×3, first 2 shown]
	v_mov_b32_e32 v9, v14
	v_mad_u64_u32 v[9:10], s[2:3], s1, v10, v[9:10]
	s_load_dwordx2 s[2:3], s[4:5], 0x38
	s_lshl_b64 s[0:1], s[0:1], 7
	v_mov_b32_e32 v14, v9
	v_lshlrev_b64 v[9:10], 3, v[11:12]
	v_mov_b32_e32 v34, s1
	s_waitcnt lgkmcnt(0)
	v_mov_b32_e32 v22, s3
	v_add_co_u32_e32 v11, vcc, s2, v9
	v_addc_co_u32_e32 v12, vcc, v22, v10, vcc
	v_lshlrev_b64 v[9:10], 3, v[13:14]
	v_sub_f32_e32 v13, v19, v28
	v_add_co_u32_e32 v23, vcc, v11, v9
	v_addc_co_u32_e32 v24, vcc, v12, v10, vcc
	v_sub_f32_e32 v14, v20, v32
	v_sub_f32_e32 v10, v33, v31
	;; [unrolled: 1-line block ×3, first 2 shown]
	v_fma_f32 v19, v19, 2.0, -v13
	v_fma_f32 v20, v20, 2.0, -v14
	;; [unrolled: 1-line block ×4, first 2 shown]
	v_add_f32_e32 v9, v13, v9
	v_sub_f32_e32 v10, v14, v10
	v_sub_f32_e32 v11, v19, v11
	;; [unrolled: 1-line block ×3, first 2 shown]
	v_fma_f32 v13, v13, 2.0, -v9
	v_fma_f32 v14, v14, 2.0, -v10
	ds_write2_b64 v36, v[11:12], v[9:10] offset0:8 offset1:12
	v_fma_f32 v9, v19, 2.0, -v11
	v_fma_f32 v10, v20, 2.0, -v12
	ds_write2_b64 v36, v[9:10], v[13:14] offset1:4
	s_waitcnt lgkmcnt(0)
	; wave barrier
	s_waitcnt lgkmcnt(0)
	ds_read2_b64 v[9:12], v0 offset0:32 offset1:48
	ds_read2_b64 v[19:22], v0 offset1:16
	v_add_co_u32_e32 v25, vcc, s0, v23
	v_addc_co_u32_e32 v26, vcc, v24, v34, vcc
	s_waitcnt lgkmcnt(1)
	v_mul_f32_e32 v13, v30, v12
	v_mul_f32_e32 v14, v30, v11
	v_fmac_f32_e32 v13, v29, v11
	v_fma_f32 v11, v29, v12, -v14
	v_mul_f32_e32 v12, v18, v10
	v_mul_f32_e32 v14, v18, v9
	v_fmac_f32_e32 v12, v17, v9
	v_fma_f32 v9, v17, v10, -v14
	s_waitcnt lgkmcnt(0)
	v_mul_f32_e32 v10, v16, v22
	v_mul_f32_e32 v14, v16, v21
	v_fmac_f32_e32 v10, v15, v21
	v_fma_f32 v14, v15, v22, -v14
	v_sub_f32_e32 v15, v19, v12
	v_sub_f32_e32 v16, v20, v9
	;; [unrolled: 1-line block ×4, first 2 shown]
	v_fma_f32 v17, v19, 2.0, -v15
	v_fma_f32 v18, v20, 2.0, -v16
	v_fma_f32 v11, v10, 2.0, -v12
	v_fma_f32 v13, v14, 2.0, -v9
	v_add_f32_e32 v9, v15, v9
	v_sub_f32_e32 v10, v16, v12
	v_sub_f32_e32 v11, v17, v11
	;; [unrolled: 1-line block ×3, first 2 shown]
	v_fma_f32 v13, v15, 2.0, -v9
	v_fma_f32 v14, v16, 2.0, -v10
	;; [unrolled: 1-line block ×4, first 2 shown]
	ds_write2_b64 v0, v[15:16], v[13:14] offset1:16
	ds_write2_b64 v0, v[11:12], v[9:10] offset0:32 offset1:48
	s_waitcnt lgkmcnt(0)
	; wave barrier
	s_waitcnt lgkmcnt(0)
	ds_read2_b64 v[9:12], v0 offset1:16
	ds_read2_b64 v[13:16], v0 offset0:32 offset1:48
	v_add_co_u32_e32 v27, vcc, s0, v25
	v_addc_co_u32_e32 v28, vcc, v26, v34, vcc
	s_waitcnt lgkmcnt(1)
	v_mul_f32_e32 v0, v4, v10
	v_mul_f32_e32 v4, v4, v9
	v_mul_f32_e32 v19, v2, v12
	v_mul_f32_e32 v2, v2, v11
	s_waitcnt lgkmcnt(0)
	v_mul_f32_e32 v20, v6, v14
	v_mul_f32_e32 v6, v6, v13
	;; [unrolled: 1-line block ×4, first 2 shown]
	v_fmac_f32_e32 v0, v3, v9
	v_fma_f32 v3, v3, v10, -v4
	v_add_co_u32_e32 v17, vcc, s0, v27
	v_fmac_f32_e32 v19, v1, v11
	v_fma_f32 v4, v1, v12, -v2
	v_fmac_f32_e32 v20, v5, v13
	v_fma_f32 v5, v5, v14, -v6
	;; [unrolled: 2-line block ×3, first 2 shown]
	v_mul_f32_e32 v0, 0x3c800000, v0
	v_mul_f32_e32 v1, 0x3c800000, v3
	v_addc_co_u32_e32 v18, vcc, v28, v34, vcc
	v_mul_f32_e32 v2, 0x3c800000, v19
	v_mul_f32_e32 v3, 0x3c800000, v4
	;; [unrolled: 1-line block ×6, first 2 shown]
	global_store_dwordx2 v[23:24], v[0:1], off
	global_store_dwordx2 v[25:26], v[2:3], off
	global_store_dwordx2 v[27:28], v[4:5], off
	global_store_dwordx2 v[17:18], v[6:7], off
.LBB0_2:
	s_endpgm
	.section	.rodata,"a",@progbits
	.p2align	6, 0x0
	.amdhsa_kernel bluestein_single_back_len64_dim1_sp_op_CI_CI
		.amdhsa_group_segment_fixed_size 2048
		.amdhsa_private_segment_fixed_size 0
		.amdhsa_kernarg_size 104
		.amdhsa_user_sgpr_count 6
		.amdhsa_user_sgpr_private_segment_buffer 1
		.amdhsa_user_sgpr_dispatch_ptr 0
		.amdhsa_user_sgpr_queue_ptr 0
		.amdhsa_user_sgpr_kernarg_segment_ptr 1
		.amdhsa_user_sgpr_dispatch_id 0
		.amdhsa_user_sgpr_flat_scratch_init 0
		.amdhsa_user_sgpr_private_segment_size 0
		.amdhsa_uses_dynamic_stack 0
		.amdhsa_system_sgpr_private_segment_wavefront_offset 0
		.amdhsa_system_sgpr_workgroup_id_x 1
		.amdhsa_system_sgpr_workgroup_id_y 0
		.amdhsa_system_sgpr_workgroup_id_z 0
		.amdhsa_system_sgpr_workgroup_info 0
		.amdhsa_system_vgpr_workitem_id 0
		.amdhsa_next_free_vgpr 37
		.amdhsa_next_free_sgpr 20
		.amdhsa_reserve_vcc 1
		.amdhsa_reserve_flat_scratch 0
		.amdhsa_float_round_mode_32 0
		.amdhsa_float_round_mode_16_64 0
		.amdhsa_float_denorm_mode_32 3
		.amdhsa_float_denorm_mode_16_64 3
		.amdhsa_dx10_clamp 1
		.amdhsa_ieee_mode 1
		.amdhsa_fp16_overflow 0
		.amdhsa_exception_fp_ieee_invalid_op 0
		.amdhsa_exception_fp_denorm_src 0
		.amdhsa_exception_fp_ieee_div_zero 0
		.amdhsa_exception_fp_ieee_overflow 0
		.amdhsa_exception_fp_ieee_underflow 0
		.amdhsa_exception_fp_ieee_inexact 0
		.amdhsa_exception_int_div_zero 0
	.end_amdhsa_kernel
	.text
.Lfunc_end0:
	.size	bluestein_single_back_len64_dim1_sp_op_CI_CI, .Lfunc_end0-bluestein_single_back_len64_dim1_sp_op_CI_CI
                                        ; -- End function
	.section	.AMDGPU.csdata,"",@progbits
; Kernel info:
; codeLenInByte = 2092
; NumSgprs: 24
; NumVgprs: 37
; ScratchSize: 0
; MemoryBound: 0
; FloatMode: 240
; IeeeMode: 1
; LDSByteSize: 2048 bytes/workgroup (compile time only)
; SGPRBlocks: 2
; VGPRBlocks: 9
; NumSGPRsForWavesPerEU: 24
; NumVGPRsForWavesPerEU: 37
; Occupancy: 6
; WaveLimiterHint : 1
; COMPUTE_PGM_RSRC2:SCRATCH_EN: 0
; COMPUTE_PGM_RSRC2:USER_SGPR: 6
; COMPUTE_PGM_RSRC2:TRAP_HANDLER: 0
; COMPUTE_PGM_RSRC2:TGID_X_EN: 1
; COMPUTE_PGM_RSRC2:TGID_Y_EN: 0
; COMPUTE_PGM_RSRC2:TGID_Z_EN: 0
; COMPUTE_PGM_RSRC2:TIDIG_COMP_CNT: 0
	.type	__hip_cuid_69aeab298e2fab94,@object ; @__hip_cuid_69aeab298e2fab94
	.section	.bss,"aw",@nobits
	.globl	__hip_cuid_69aeab298e2fab94
__hip_cuid_69aeab298e2fab94:
	.byte	0                               ; 0x0
	.size	__hip_cuid_69aeab298e2fab94, 1

	.ident	"AMD clang version 19.0.0git (https://github.com/RadeonOpenCompute/llvm-project roc-6.4.0 25133 c7fe45cf4b819c5991fe208aaa96edf142730f1d)"
	.section	".note.GNU-stack","",@progbits
	.addrsig
	.addrsig_sym __hip_cuid_69aeab298e2fab94
	.amdgpu_metadata
---
amdhsa.kernels:
  - .args:
      - .actual_access:  read_only
        .address_space:  global
        .offset:         0
        .size:           8
        .value_kind:     global_buffer
      - .actual_access:  read_only
        .address_space:  global
        .offset:         8
        .size:           8
        .value_kind:     global_buffer
      - .actual_access:  read_only
        .address_space:  global
        .offset:         16
        .size:           8
        .value_kind:     global_buffer
      - .actual_access:  read_only
        .address_space:  global
        .offset:         24
        .size:           8
        .value_kind:     global_buffer
      - .actual_access:  read_only
        .address_space:  global
        .offset:         32
        .size:           8
        .value_kind:     global_buffer
      - .offset:         40
        .size:           8
        .value_kind:     by_value
      - .address_space:  global
        .offset:         48
        .size:           8
        .value_kind:     global_buffer
      - .address_space:  global
        .offset:         56
        .size:           8
        .value_kind:     global_buffer
      - .address_space:  global
        .offset:         64
        .size:           8
        .value_kind:     global_buffer
      - .address_space:  global
        .offset:         72
        .size:           8
        .value_kind:     global_buffer
      - .offset:         80
        .size:           4
        .value_kind:     by_value
      - .address_space:  global
        .offset:         88
        .size:           8
        .value_kind:     global_buffer
      - .address_space:  global
        .offset:         96
        .size:           8
        .value_kind:     global_buffer
    .group_segment_fixed_size: 2048
    .kernarg_segment_align: 8
    .kernarg_segment_size: 104
    .language:       OpenCL C
    .language_version:
      - 2
      - 0
    .max_flat_workgroup_size: 64
    .name:           bluestein_single_back_len64_dim1_sp_op_CI_CI
    .private_segment_fixed_size: 0
    .sgpr_count:     24
    .sgpr_spill_count: 0
    .symbol:         bluestein_single_back_len64_dim1_sp_op_CI_CI.kd
    .uniform_work_group_size: 1
    .uses_dynamic_stack: false
    .vgpr_count:     37
    .vgpr_spill_count: 0
    .wavefront_size: 64
amdhsa.target:   amdgcn-amd-amdhsa--gfx906
amdhsa.version:
  - 1
  - 2
...

	.end_amdgpu_metadata
